;; amdgpu-corpus repo=ROCm/rocFFT kind=compiled arch=gfx1030 opt=O3
	.text
	.amdgcn_target "amdgcn-amd-amdhsa--gfx1030"
	.amdhsa_code_object_version 6
	.protected	fft_rtc_back_len243_factors_3_3_3_3_3_wgs_243_tpt_81_dp_op_CI_CI_sbcc_twdbase8_3step_dirReg ; -- Begin function fft_rtc_back_len243_factors_3_3_3_3_3_wgs_243_tpt_81_dp_op_CI_CI_sbcc_twdbase8_3step_dirReg
	.globl	fft_rtc_back_len243_factors_3_3_3_3_3_wgs_243_tpt_81_dp_op_CI_CI_sbcc_twdbase8_3step_dirReg
	.p2align	8
	.type	fft_rtc_back_len243_factors_3_3_3_3_3_wgs_243_tpt_81_dp_op_CI_CI_sbcc_twdbase8_3step_dirReg,@function
fft_rtc_back_len243_factors_3_3_3_3_3_wgs_243_tpt_81_dp_op_CI_CI_sbcc_twdbase8_3step_dirReg: ; @fft_rtc_back_len243_factors_3_3_3_3_3_wgs_243_tpt_81_dp_op_CI_CI_sbcc_twdbase8_3step_dirReg
; %bb.0:
	s_clause 0x1
	s_load_dwordx4 s[16:19], s[4:5], 0x18
	s_load_dwordx2 s[30:31], s[4:5], 0x28
	s_mov_b64 s[24:25], 0
	s_waitcnt lgkmcnt(0)
	s_load_dwordx2 s[28:29], s[16:17], 0x8
	s_waitcnt lgkmcnt(0)
	s_add_u32 s0, s28, -1
	s_addc_u32 s1, s29, -1
	s_add_u32 s2, 0, 0x55500000
	s_addc_u32 s3, 0, 0x155
	s_mul_hi_u32 s8, s2, -3
	s_add_i32 s3, s3, 0x55555400
	s_sub_i32 s8, s8, s2
	s_mul_i32 s10, s3, -3
	s_mul_i32 s7, s2, -3
	s_add_i32 s8, s8, s10
	s_mul_hi_u32 s9, s2, s7
	s_mul_i32 s12, s2, s8
	s_mul_hi_u32 s10, s2, s8
	s_mul_hi_u32 s11, s3, s7
	s_mul_i32 s7, s3, s7
	s_add_u32 s9, s9, s12
	s_addc_u32 s10, 0, s10
	s_mul_hi_u32 s13, s3, s8
	s_add_u32 s7, s9, s7
	s_mul_i32 s8, s3, s8
	s_addc_u32 s7, s10, s11
	s_addc_u32 s9, s13, 0
	s_add_u32 s7, s7, s8
	v_add_co_u32 v1, s2, s2, s7
	s_addc_u32 s7, 0, s9
	s_cmp_lg_u32 s2, 0
	s_addc_u32 s2, s3, s7
	v_readfirstlane_b32 s3, v1
	s_mul_i32 s8, s0, s2
	s_mul_hi_u32 s7, s0, s2
	s_mul_hi_u32 s9, s1, s2
	s_mul_i32 s2, s1, s2
	s_mul_hi_u32 s10, s0, s3
	s_mul_hi_u32 s11, s1, s3
	s_mul_i32 s3, s1, s3
	s_add_u32 s8, s10, s8
	s_addc_u32 s7, 0, s7
	s_add_u32 s3, s8, s3
	s_addc_u32 s3, s7, s11
	s_addc_u32 s7, s9, 0
	s_add_u32 s2, s3, s2
	s_addc_u32 s3, 0, s7
	s_mul_i32 s8, s2, 3
	s_add_u32 s7, s2, 1
	v_sub_co_u32 v1, s0, s0, s8
	s_mul_hi_u32 s8, s2, 3
	s_addc_u32 s9, s3, 0
	s_mul_i32 s10, s3, 3
	v_sub_co_u32 v2, s11, v1, 3
	s_add_u32 s12, s2, 2
	s_addc_u32 s13, s3, 0
	s_add_i32 s8, s8, s10
	s_cmp_lg_u32 s0, 0
	v_readfirstlane_b32 s0, v2
	s_subb_u32 s1, s1, s8
	s_cmp_lg_u32 s11, 0
	s_subb_u32 s8, s1, 0
	s_cmp_gt_u32 s0, 2
	s_cselect_b32 s0, -1, 0
	s_cmp_eq_u32 s8, 0
	v_readfirstlane_b32 s8, v1
	s_cselect_b32 s0, s0, -1
	s_cmp_lg_u32 s0, 0
	s_cselect_b32 s0, s12, s7
	s_cselect_b32 s9, s13, s9
	s_cmp_gt_u32 s8, 2
	s_cselect_b32 s7, -1, 0
	s_cmp_eq_u32 s1, 0
	s_cselect_b32 s1, s7, -1
	s_mov_b32 s7, 0
	s_cmp_lg_u32 s1, 0
	s_cselect_b32 s0, s0, s2
	s_cselect_b32 s1, s9, s3
	s_add_u32 s36, s0, 1
	s_addc_u32 s37, s1, 0
	v_cmp_lt_u64_e64 s0, s[6:7], s[36:37]
	s_and_b32 vcc_lo, exec_lo, s0
	s_cbranch_vccnz .LBB0_2
; %bb.1:
	v_cvt_f32_u32_e32 v1, s36
	s_sub_i32 s1, 0, s36
	s_mov_b32 s25, s7
	v_rcp_iflag_f32_e32 v1, v1
	v_mul_f32_e32 v1, 0x4f7ffffe, v1
	v_cvt_u32_f32_e32 v1, v1
	v_readfirstlane_b32 s0, v1
	s_mul_i32 s1, s1, s0
	s_mul_hi_u32 s1, s0, s1
	s_add_i32 s0, s0, s1
	s_mul_hi_u32 s0, s6, s0
	s_mul_i32 s1, s0, s36
	s_add_i32 s2, s0, 1
	s_sub_i32 s1, s6, s1
	s_sub_i32 s3, s1, s36
	s_cmp_ge_u32 s1, s36
	s_cselect_b32 s0, s2, s0
	s_cselect_b32 s1, s3, s1
	s_add_i32 s2, s0, 1
	s_cmp_ge_u32 s1, s36
	s_cselect_b32 s24, s2, s0
.LBB0_2:
	s_load_dwordx4 s[20:23], s[18:19], 0x0
	s_load_dwordx4 s[0:3], s[30:31], 0x0
	s_clause 0x1
	s_load_dwordx4 s[12:15], s[4:5], 0x8
	s_load_dwordx2 s[26:27], s[4:5], 0x0
	s_mul_i32 s8, s24, s37
	s_mul_hi_u32 s9, s24, s36
	s_mul_i32 s10, s24, s36
	s_add_i32 s9, s9, s8
	s_sub_u32 s50, s6, s10
	s_subb_u32 s8, 0, s9
	s_mul_hi_u32 s33, s50, 3
	s_mul_i32 s34, s8, 3
	s_load_dwordx4 s[8:11], s[4:5], 0x60
	s_add_i32 s33, s33, s34
	s_mul_i32 s50, s50, 3
	s_waitcnt lgkmcnt(0)
	s_mul_i32 s4, s22, s33
	s_mul_hi_u32 s5, s22, s50
	v_cmp_lt_u64_e64 s40, s[14:15], 3
	s_mul_i32 s35, s2, s33
	s_mul_hi_u32 s38, s2, s50
	s_mul_i32 s34, s23, s50
	s_mul_i32 s39, s3, s50
	s_add_i32 s4, s5, s4
	s_add_i32 s5, s38, s35
	;; [unrolled: 1-line block ×3, first 2 shown]
	s_mul_i32 s34, s22, s50
	s_add_i32 s5, s5, s39
	s_and_b32 vcc_lo, exec_lo, s40
	s_mul_i32 s4, s2, s50
	s_cbranch_vccnz .LBB0_12
; %bb.3:
	s_add_u32 s38, s30, 16
	s_addc_u32 s39, s31, 0
	s_add_u32 s40, s18, 16
	s_addc_u32 s41, s19, 0
	;; [unrolled: 2-line block ×3, first 2 shown]
	s_mov_b64 s[42:43], 2
	s_mov_b32 s44, 0
.LBB0_4:                                ; =>This Inner Loop Header: Depth=1
	s_load_dwordx2 s[46:47], s[16:17], 0x0
	s_waitcnt lgkmcnt(0)
	s_or_b64 s[48:49], s[24:25], s[46:47]
	s_mov_b32 s45, s49
                                        ; implicit-def: $sgpr48_sgpr49
	s_cmp_lg_u64 s[44:45], 0
	s_mov_b32 s45, -1
	s_cbranch_scc0 .LBB0_6
; %bb.5:                                ;   in Loop: Header=BB0_4 Depth=1
	v_cvt_f32_u32_e32 v1, s46
	v_cvt_f32_u32_e32 v2, s47
	s_sub_u32 s49, 0, s46
	s_subb_u32 s51, 0, s47
	v_fmac_f32_e32 v1, 0x4f800000, v2
	v_rcp_f32_e32 v1, v1
	v_mul_f32_e32 v1, 0x5f7ffffc, v1
	v_mul_f32_e32 v2, 0x2f800000, v1
	v_trunc_f32_e32 v2, v2
	v_fmac_f32_e32 v1, 0xcf800000, v2
	v_cvt_u32_f32_e32 v2, v2
	v_cvt_u32_f32_e32 v1, v1
	v_readfirstlane_b32 s45, v2
	v_readfirstlane_b32 s48, v1
	s_mul_i32 s52, s49, s45
	s_mul_hi_u32 s54, s49, s48
	s_mul_i32 s53, s51, s48
	s_add_i32 s52, s54, s52
	s_mul_i32 s55, s49, s48
	s_add_i32 s52, s52, s53
	s_mul_hi_u32 s54, s48, s55
	s_mul_hi_u32 s56, s45, s55
	s_mul_i32 s53, s45, s55
	s_mul_hi_u32 s55, s48, s52
	s_mul_i32 s48, s48, s52
	s_mul_hi_u32 s57, s45, s52
	s_add_u32 s48, s54, s48
	s_addc_u32 s54, 0, s55
	s_add_u32 s48, s48, s53
	s_mul_i32 s52, s45, s52
	s_addc_u32 s48, s54, s56
	s_addc_u32 s53, s57, 0
	s_add_u32 s48, s48, s52
	s_addc_u32 s52, 0, s53
	v_add_co_u32 v1, s48, v1, s48
	s_cmp_lg_u32 s48, 0
	s_addc_u32 s45, s45, s52
	v_readfirstlane_b32 s48, v1
	s_mul_i32 s52, s49, s45
	s_mul_hi_u32 s53, s49, s48
	s_mul_i32 s51, s51, s48
	s_add_i32 s52, s53, s52
	s_mul_i32 s49, s49, s48
	s_add_i32 s52, s52, s51
	s_mul_hi_u32 s53, s45, s49
	s_mul_i32 s54, s45, s49
	s_mul_hi_u32 s49, s48, s49
	s_mul_hi_u32 s55, s48, s52
	s_mul_i32 s48, s48, s52
	s_mul_hi_u32 s51, s45, s52
	s_add_u32 s48, s49, s48
	s_addc_u32 s49, 0, s55
	s_add_u32 s48, s48, s54
	s_mul_i32 s52, s45, s52
	s_addc_u32 s48, s49, s53
	s_addc_u32 s49, s51, 0
	s_add_u32 s48, s48, s52
	s_addc_u32 s49, 0, s49
	v_add_co_u32 v1, s48, v1, s48
	s_cmp_lg_u32 s48, 0
	s_addc_u32 s45, s45, s49
	v_readfirstlane_b32 s48, v1
	s_mul_i32 s51, s24, s45
	s_mul_hi_u32 s49, s24, s45
	s_mul_hi_u32 s52, s25, s45
	s_mul_i32 s45, s25, s45
	s_mul_hi_u32 s53, s24, s48
	s_mul_hi_u32 s54, s25, s48
	s_mul_i32 s48, s25, s48
	s_add_u32 s51, s53, s51
	s_addc_u32 s49, 0, s49
	s_add_u32 s48, s51, s48
	s_addc_u32 s48, s49, s54
	s_addc_u32 s49, s52, 0
	s_add_u32 s48, s48, s45
	s_addc_u32 s49, 0, s49
	s_mul_hi_u32 s45, s46, s48
	s_mul_i32 s52, s46, s49
	s_mul_i32 s53, s46, s48
	s_add_i32 s45, s45, s52
	v_sub_co_u32 v1, s52, s24, s53
	s_mul_i32 s51, s47, s48
	s_add_i32 s45, s45, s51
	v_sub_co_u32 v2, s53, v1, s46
	s_sub_i32 s51, s25, s45
	s_cmp_lg_u32 s52, 0
	s_subb_u32 s51, s51, s47
	s_cmp_lg_u32 s53, 0
	v_readfirstlane_b32 s53, v2
	s_subb_u32 s51, s51, 0
	s_cmp_ge_u32 s51, s47
	s_cselect_b32 s54, -1, 0
	s_cmp_ge_u32 s53, s46
	s_cselect_b32 s53, -1, 0
	s_cmp_eq_u32 s51, s47
	s_cselect_b32 s51, s53, s54
	s_add_u32 s53, s48, 1
	s_addc_u32 s54, s49, 0
	s_add_u32 s55, s48, 2
	s_addc_u32 s56, s49, 0
	s_cmp_lg_u32 s51, 0
	s_cselect_b32 s51, s55, s53
	s_cselect_b32 s53, s56, s54
	s_cmp_lg_u32 s52, 0
	v_readfirstlane_b32 s52, v1
	s_subb_u32 s45, s25, s45
	s_cmp_ge_u32 s45, s47
	s_cselect_b32 s54, -1, 0
	s_cmp_ge_u32 s52, s46
	s_cselect_b32 s52, -1, 0
	s_cmp_eq_u32 s45, s47
	s_cselect_b32 s45, s52, s54
	s_cmp_lg_u32 s45, 0
	s_mov_b32 s45, 0
	s_cselect_b32 s49, s53, s49
	s_cselect_b32 s48, s51, s48
.LBB0_6:                                ;   in Loop: Header=BB0_4 Depth=1
	s_andn2_b32 vcc_lo, exec_lo, s45
	s_cbranch_vccnz .LBB0_8
; %bb.7:                                ;   in Loop: Header=BB0_4 Depth=1
	v_cvt_f32_u32_e32 v1, s46
	s_sub_i32 s48, 0, s46
	v_rcp_iflag_f32_e32 v1, v1
	v_mul_f32_e32 v1, 0x4f7ffffe, v1
	v_cvt_u32_f32_e32 v1, v1
	v_readfirstlane_b32 s45, v1
	s_mul_i32 s48, s48, s45
	s_mul_hi_u32 s48, s45, s48
	s_add_i32 s45, s45, s48
	s_mul_hi_u32 s45, s24, s45
	s_mul_i32 s48, s45, s46
	s_add_i32 s49, s45, 1
	s_sub_i32 s48, s24, s48
	s_sub_i32 s51, s48, s46
	s_cmp_ge_u32 s48, s46
	s_cselect_b32 s45, s49, s45
	s_cselect_b32 s48, s51, s48
	s_add_i32 s49, s45, 1
	s_cmp_ge_u32 s48, s46
	s_cselect_b32 s48, s49, s45
	s_mov_b32 s49, s44
.LBB0_8:                                ;   in Loop: Header=BB0_4 Depth=1
	s_load_dwordx2 s[52:53], s[40:41], 0x0
	s_load_dwordx2 s[54:55], s[38:39], 0x0
	s_mul_i32 s37, s46, s37
	s_mul_hi_u32 s45, s46, s36
	s_mul_i32 s51, s47, s36
	s_mul_i32 s47, s48, s47
	s_mul_hi_u32 s56, s48, s46
	s_mul_i32 s57, s49, s46
	s_add_i32 s37, s45, s37
	s_add_i32 s45, s56, s47
	s_mul_i32 s58, s48, s46
	s_add_i32 s37, s37, s51
	s_add_i32 s45, s45, s57
	s_sub_u32 s24, s24, s58
	s_subb_u32 s25, s25, s45
	s_mul_i32 s36, s46, s36
	s_waitcnt lgkmcnt(0)
	s_mul_i32 s45, s52, s25
	s_mul_hi_u32 s47, s52, s24
	s_mul_i32 s51, s53, s24
	s_add_i32 s45, s47, s45
	s_mul_i32 s52, s52, s24
	s_mul_i32 s25, s54, s25
	s_mul_hi_u32 s47, s54, s24
	s_add_i32 s45, s45, s51
	s_add_u32 s34, s52, s34
	s_addc_u32 s35, s45, s35
	s_add_i32 s25, s47, s25
	s_mul_i32 s45, s55, s24
	s_mul_i32 s24, s54, s24
	s_add_i32 s25, s25, s45
	s_add_u32 s4, s24, s4
	s_addc_u32 s5, s25, s5
	s_add_u32 s42, s42, 1
	s_addc_u32 s43, s43, 0
	s_add_u32 s38, s38, 8
	v_cmp_ge_u64_e64 s24, s[42:43], s[14:15]
	s_addc_u32 s39, s39, 0
	s_add_u32 s40, s40, 8
	s_addc_u32 s41, s41, 0
	s_add_u32 s16, s16, 8
	s_addc_u32 s17, s17, 0
	s_and_b32 vcc_lo, exec_lo, s24
	s_cbranch_vccnz .LBB0_10
; %bb.9:                                ;   in Loop: Header=BB0_4 Depth=1
	s_mov_b64 s[24:25], s[48:49]
	s_branch .LBB0_4
.LBB0_10:
	v_cmp_lt_u64_e64 s7, s[6:7], s[36:37]
	s_mov_b64 s[24:25], 0
	s_and_b32 vcc_lo, exec_lo, s7
	s_cbranch_vccnz .LBB0_12
; %bb.11:
	v_cvt_f32_u32_e32 v1, s36
	s_sub_i32 s16, 0, s36
	v_rcp_iflag_f32_e32 v1, v1
	v_mul_f32_e32 v1, 0x4f7ffffe, v1
	v_cvt_u32_f32_e32 v1, v1
	v_readfirstlane_b32 s7, v1
	s_mul_i32 s16, s16, s7
	s_mul_hi_u32 s16, s7, s16
	s_add_i32 s7, s7, s16
	s_mul_hi_u32 s7, s6, s7
	s_mul_i32 s16, s7, s36
	s_sub_i32 s6, s6, s16
	s_add_i32 s16, s7, 1
	s_sub_i32 s17, s6, s36
	s_cmp_ge_u32 s6, s36
	s_cselect_b32 s7, s16, s7
	s_cselect_b32 s6, s17, s6
	s_add_i32 s16, s7, 1
	s_cmp_ge_u32 s6, s36
	s_cselect_b32 s24, s16, s7
.LBB0_12:
	v_mul_u32_u24_e32 v1, 0x5556, v0
	s_lshl_b64 s[6:7], s[14:15], 3
                                        ; implicit-def: $vgpr3_vgpr4
                                        ; implicit-def: $vgpr11_vgpr12
                                        ; implicit-def: $vgpr7_vgpr8
	s_add_u32 s14, s30, s6
	s_addc_u32 s15, s31, s7
	v_lshrrev_b32_e32 v16, 16, v1
	v_mul_lo_u16 v1, v16, 3
	v_sub_nc_u16 v1, v0, v1
	v_and_b32_e32 v15, 0xffff, v1
                                        ; kill: def $vgpr1_vgpr2 killed $sgpr0_sgpr1 killed $exec
	v_add_co_u32 v13, s16, s50, v15
	v_add_co_ci_u32_e64 v14, null, s33, 0, s16
	s_add_u32 s16, s50, 3
	s_addc_u32 s17, s33, 0
	v_cmp_le_u64_e64 s16, s[16:17], s[28:29]
	v_cmp_gt_u64_e32 vcc_lo, s[28:29], v[13:14]
	s_or_b32 s16, s16, vcc_lo
	s_and_saveexec_b32 s17, s16
	s_cbranch_execz .LBB0_14
; %bb.13:
	s_add_u32 s6, s18, s6
	v_add_nc_u32_e32 v12, 0x51, v16
	s_addc_u32 s7, s19, s7
	v_mad_u64_u32 v[1:2], null, s22, v15, 0
	s_load_dwordx2 s[6:7], s[6:7], 0x0
	v_mad_u64_u32 v[3:4], null, s20, v16, 0
	v_mad_u64_u32 v[5:6], null, s20, v12, 0
	v_add_nc_u32_e32 v14, 0xa2, v16
	v_mad_u64_u32 v[9:10], null, s23, v15, v[2:3]
	v_mad_u64_u32 v[7:8], null, s20, v14, 0
	;; [unrolled: 1-line block ×3, first 2 shown]
	v_mov_b32_e32 v2, v9
	s_waitcnt lgkmcnt(0)
	s_mul_i32 s7, s7, s24
	v_mov_b32_e32 v4, v10
	v_mad_u64_u32 v[9:10], null, s21, v12, v[6:7]
	v_mov_b32_e32 v6, v8
	s_mul_hi_u32 s18, s6, s24
	s_mul_i32 s6, s6, s24
	s_add_i32 s7, s18, s7
	v_lshlrev_b64 v[1:2], 4, v[1:2]
	v_mad_u64_u32 v[10:11], null, s21, v14, v[6:7]
	s_lshl_b64 s[6:7], s[6:7], 4
	v_mov_b32_e32 v6, v9
	s_add_u32 s8, s8, s6
	s_addc_u32 s9, s9, s7
	s_lshl_b64 s[6:7], s[34:35], 4
	v_lshlrev_b64 v[3:4], 4, v[3:4]
	s_add_u32 s6, s8, s6
	s_addc_u32 s7, s9, s7
	v_add_co_u32 v9, vcc_lo, s6, v1
	v_mov_b32_e32 v8, v10
	v_add_co_ci_u32_e32 v11, vcc_lo, s7, v2, vcc_lo
	v_lshlrev_b64 v[1:2], 4, v[5:6]
	v_add_co_u32 v3, vcc_lo, v9, v3
	v_lshlrev_b64 v[5:6], 4, v[7:8]
	v_add_co_ci_u32_e32 v4, vcc_lo, v11, v4, vcc_lo
	v_add_co_u32 v1, vcc_lo, v9, v1
	v_add_co_ci_u32_e32 v2, vcc_lo, v11, v2, vcc_lo
	v_add_co_u32 v17, vcc_lo, v9, v5
	v_add_co_ci_u32_e32 v18, vcc_lo, v11, v6, vcc_lo
	s_clause 0x2
	global_load_dwordx4 v[5:8], v[3:4], off
	global_load_dwordx4 v[9:12], v[1:2], off
	;; [unrolled: 1-line block ×3, first 2 shown]
.LBB0_14:
	s_or_b32 exec_lo, exec_lo, s17
	s_waitcnt vmcnt(0)
	v_add_f64 v[17:18], v[1:2], v[9:10]
	v_add_f64 v[19:20], v[3:4], v[11:12]
	;; [unrolled: 1-line block ×3, first 2 shown]
	v_add_f64 v[23:24], v[11:12], -v[3:4]
	v_add_f64 v[11:12], v[11:12], v[7:8]
	v_add_f64 v[25:26], v[9:10], -v[1:2]
	s_mov_b32 s6, 0xe8584caa
	s_mov_b32 s7, 0xbfebb67a
	;; [unrolled: 1-line block ×4, first 2 shown]
	v_lshlrev_b32_e32 v27, 4, v15
	s_load_dwordx2 s[14:15], s[14:15], 0x0
	v_fma_f64 v[17:18], v[17:18], -0.5, v[5:6]
	v_fma_f64 v[19:20], v[19:20], -0.5, v[7:8]
	v_mul_u32_u24_e32 v5, 0x5556, v16
	v_add_f64 v[7:8], v[3:4], v[11:12]
	v_mul_u32_u24_e32 v3, 0x90, v16
	v_lshrrev_b32_e32 v14, 16, v5
	v_add_f64 v[5:6], v[1:2], v[21:22]
	v_mov_b32_e32 v2, 4
	v_add3_u32 v21, 0, v3, v27
	v_mul_lo_u16 v1, v14, 3
	v_sub_nc_u16 v14, v16, v1
	v_lshlrev_b16 v1, 1, v14
	v_fma_f64 v[9:10], v[23:24], s[6:7], v[17:18]
	v_fma_f64 v[11:12], v[25:26], s[8:9], v[19:20]
	;; [unrolled: 1-line block ×4, first 2 shown]
	v_lshlrev_b32_sdwa v1, v2, v1 dst_sel:DWORD dst_unused:UNUSED_PAD src0_sel:DWORD src1_sel:WORD_0
	ds_write_b128 v21, v[5:8]
	ds_write_b128 v21, v[9:12] offset:48
	ds_write_b128 v21, v[17:20] offset:96
	s_waitcnt lgkmcnt(0)
	s_barrier
	buffer_gl0_inv
	s_clause 0x1
	global_load_dwordx4 v[3:6], v1, s[26:27]
	global_load_dwordx4 v[7:10], v1, s[26:27] offset:16
	v_mad_i32_i24 v1, 0xffffffa0, v16, v21
	ds_read_b128 v[17:20], v1 offset:3888
	ds_read_b128 v[21:24], v1 offset:7776
	s_waitcnt vmcnt(1) lgkmcnt(1)
	v_mul_f64 v[11:12], v[19:20], v[5:6]
	s_waitcnt vmcnt(0) lgkmcnt(0)
	v_mul_f64 v[25:26], v[23:24], v[9:10]
	v_mul_f64 v[5:6], v[17:18], v[5:6]
	;; [unrolled: 1-line block ×3, first 2 shown]
	v_fma_f64 v[11:12], v[17:18], v[3:4], v[11:12]
	v_fma_f64 v[17:18], v[21:22], v[7:8], v[25:26]
	v_fma_f64 v[19:20], v[19:20], v[3:4], -v[5:6]
	v_fma_f64 v[7:8], v[23:24], v[7:8], -v[9:10]
	ds_read_b128 v[3:6], v1
	s_waitcnt lgkmcnt(0)
	s_barrier
	buffer_gl0_inv
	v_add_f64 v[9:10], v[11:12], v[17:18]
	v_add_f64 v[23:24], v[3:4], v[11:12]
	;; [unrolled: 1-line block ×3, first 2 shown]
	v_add_f64 v[25:26], v[19:20], -v[7:8]
	v_add_f64 v[19:20], v[5:6], v[19:20]
	v_add_f64 v[11:12], v[11:12], -v[17:18]
	v_fma_f64 v[9:10], v[9:10], -0.5, v[3:4]
	v_mov_b32_e32 v3, 0x1c72
	v_fma_f64 v[21:22], v[21:22], -0.5, v[5:6]
	v_mul_u32_u24_e32 v4, 0x1c72, v16
	v_add_f64 v[5:6], v[19:20], v[7:8]
	v_mul_u32_u24_sdwa v3, v0, v3 dst_sel:DWORD dst_unused:UNUSED_PAD src0_sel:WORD_0 src1_sel:DWORD
	v_lshrrev_b32_e32 v28, 16, v4
	v_lshrrev_b32_e32 v29, 16, v3
	v_add_f64 v[3:4], v[23:24], v[17:18]
	v_fma_f64 v[7:8], v[25:26], s[6:7], v[9:10]
	v_fma_f64 v[17:18], v[25:26], s[8:9], v[9:10]
	;; [unrolled: 1-line block ×4, first 2 shown]
	v_mul_lo_u16 v11, v28, 9
	v_mov_b32_e32 v28, 48
	v_mad_u16 v12, v29, 9, v14
	v_sub_nc_u16 v14, v16, v11
	v_mul_u32_u24_sdwa v11, v12, v28 dst_sel:DWORD dst_unused:UNUSED_PAD src0_sel:WORD_0 src1_sel:DWORD
	v_lshlrev_b16 v12, 1, v14
	v_add3_u32 v11, 0, v11, v27
	ds_write_b128 v11, v[3:6]
	ds_write_b128 v11, v[7:10] offset:144
	ds_write_b128 v11, v[17:20] offset:288
	v_lshlrev_b32_sdwa v12, v2, v12 dst_sel:DWORD dst_unused:UNUSED_PAD src0_sel:DWORD src1_sel:WORD_0
	s_waitcnt lgkmcnt(0)
	s_barrier
	buffer_gl0_inv
	s_clause 0x1
	global_load_dwordx4 v[3:6], v12, s[26:27] offset:96
	global_load_dwordx4 v[7:10], v12, s[26:27] offset:112
	ds_read_b128 v[17:20], v1 offset:3888
	ds_read_b128 v[21:24], v1 offset:7776
	s_waitcnt vmcnt(1) lgkmcnt(1)
	v_mul_f64 v[11:12], v[19:20], v[5:6]
	s_waitcnt vmcnt(0) lgkmcnt(0)
	v_mul_f64 v[25:26], v[23:24], v[9:10]
	v_mul_f64 v[5:6], v[17:18], v[5:6]
	;; [unrolled: 1-line block ×3, first 2 shown]
	v_fma_f64 v[11:12], v[17:18], v[3:4], v[11:12]
	v_fma_f64 v[17:18], v[21:22], v[7:8], v[25:26]
	v_fma_f64 v[19:20], v[19:20], v[3:4], -v[5:6]
	v_fma_f64 v[7:8], v[23:24], v[7:8], -v[9:10]
	ds_read_b128 v[3:6], v1
	s_waitcnt lgkmcnt(0)
	s_barrier
	buffer_gl0_inv
	v_add_f64 v[9:10], v[11:12], v[17:18]
	v_add_f64 v[23:24], v[3:4], v[11:12]
	;; [unrolled: 1-line block ×3, first 2 shown]
	v_add_f64 v[25:26], v[19:20], -v[7:8]
	v_add_f64 v[19:20], v[5:6], v[19:20]
	v_add_f64 v[11:12], v[11:12], -v[17:18]
	v_fma_f64 v[9:10], v[9:10], -0.5, v[3:4]
	v_mov_b32_e32 v3, 0x97c
	v_fma_f64 v[21:22], v[21:22], -0.5, v[5:6]
	v_mul_u32_u24_e32 v4, 0x97c, v16
	v_add_f64 v[5:6], v[19:20], v[7:8]
	v_mul_u32_u24_sdwa v3, v0, v3 dst_sel:DWORD dst_unused:UNUSED_PAD src0_sel:WORD_0 src1_sel:DWORD
	v_lshrrev_b32_e32 v29, 16, v4
	v_lshrrev_b32_e32 v30, 16, v3
	v_add_f64 v[3:4], v[23:24], v[17:18]
	v_fma_f64 v[7:8], v[25:26], s[6:7], v[9:10]
	v_fma_f64 v[17:18], v[25:26], s[8:9], v[9:10]
	;; [unrolled: 1-line block ×4, first 2 shown]
	v_mul_lo_u16 v11, v29, 27
	v_mad_u16 v12, v30, 27, v14
	v_sub_nc_u16 v14, v16, v11
	v_mul_u32_u24_sdwa v11, v12, v28 dst_sel:DWORD dst_unused:UNUSED_PAD src0_sel:WORD_0 src1_sel:DWORD
	v_lshlrev_b16 v12, 1, v14
	v_add3_u32 v11, 0, v11, v27
	ds_write_b128 v11, v[3:6]
	ds_write_b128 v11, v[7:10] offset:432
	ds_write_b128 v11, v[17:20] offset:864
	v_lshlrev_b32_sdwa v12, v2, v12 dst_sel:DWORD dst_unused:UNUSED_PAD src0_sel:DWORD src1_sel:WORD_0
	s_waitcnt lgkmcnt(0)
	s_barrier
	buffer_gl0_inv
	s_clause 0x1
	global_load_dwordx4 v[3:6], v12, s[26:27] offset:384
	global_load_dwordx4 v[7:10], v12, s[26:27] offset:400
	ds_read_b128 v[17:20], v1 offset:3888
	ds_read_b128 v[21:24], v1 offset:7776
	s_waitcnt vmcnt(1) lgkmcnt(1)
	v_mul_f64 v[11:12], v[19:20], v[5:6]
	s_waitcnt vmcnt(0) lgkmcnt(0)
	v_mul_f64 v[25:26], v[23:24], v[9:10]
	v_mul_f64 v[5:6], v[17:18], v[5:6]
	;; [unrolled: 1-line block ×3, first 2 shown]
	v_fma_f64 v[11:12], v[17:18], v[3:4], v[11:12]
	v_fma_f64 v[17:18], v[21:22], v[7:8], v[25:26]
	v_fma_f64 v[19:20], v[19:20], v[3:4], -v[5:6]
	v_fma_f64 v[7:8], v[23:24], v[7:8], -v[9:10]
	ds_read_b128 v[3:6], v1
	s_waitcnt lgkmcnt(0)
	s_barrier
	buffer_gl0_inv
	v_add_f64 v[9:10], v[11:12], v[17:18]
	v_add_f64 v[23:24], v[3:4], v[11:12]
	;; [unrolled: 1-line block ×3, first 2 shown]
	v_add_f64 v[25:26], v[19:20], -v[7:8]
	v_add_f64 v[19:20], v[5:6], v[19:20]
	v_add_f64 v[11:12], v[11:12], -v[17:18]
	v_fma_f64 v[9:10], v[9:10], -0.5, v[3:4]
	v_mov_b32_e32 v3, 0x32a
	v_fma_f64 v[21:22], v[21:22], -0.5, v[5:6]
	v_add_f64 v[5:6], v[19:20], v[7:8]
	v_mul_u32_u24_sdwa v29, v0, v3 dst_sel:DWORD dst_unused:UNUSED_PAD src0_sel:WORD_0 src1_sel:DWORD
	v_add_f64 v[3:4], v[23:24], v[17:18]
	v_fma_f64 v[7:8], v[25:26], s[6:7], v[9:10]
	v_fma_f64 v[17:18], v[25:26], s[8:9], v[9:10]
	;; [unrolled: 1-line block ×4, first 2 shown]
	v_lshrrev_b32_e32 v11, 16, v29
	v_mad_u16 v11, 0x51, v11, v14
	v_mul_u32_u24_sdwa v11, v11, v28 dst_sel:DWORD dst_unused:UNUSED_PAD src0_sel:WORD_0 src1_sel:DWORD
	v_add3_u32 v11, 0, v11, v27
	ds_write_b128 v11, v[3:6]
	ds_write_b128 v11, v[7:10] offset:1296
	ds_write_b128 v11, v[17:20] offset:2592
	s_waitcnt lgkmcnt(0)
	s_barrier
	buffer_gl0_inv
	s_and_saveexec_b32 s17, s16
	s_cbranch_execz .LBB0_16
; %bb.15:
	v_mul_u32_u24_e32 v3, 0x32a, v16
	v_lshrrev_b32_e32 v3, 16, v3
	v_mul_lo_u16 v3, 0x51, v3
	v_sub_nc_u16 v3, v16, v3
	v_and_b32_e32 v58, 0xffff, v3
	v_lshlrev_b32_e32 v7, 5, v58
	v_add_nc_u32_e32 v11, 0xa2, v58
	v_mul_lo_u32 v36, v13, v58
	v_add_nc_u32_e32 v12, 0x51, v58
	s_clause 0x1
	global_load_dwordx4 v[3:6], v7, s[26:27] offset:1248
	global_load_dwordx4 v[7:10], v7, s[26:27] offset:1264
	v_mul_lo_u32 v37, v13, v11
	v_mul_lo_u32 v38, v13, v12
	v_bfe_u32 v11, v36, 8, 8
	v_lshlrev_b32_sdwa v12, v2, v36 dst_sel:DWORD dst_unused:UNUSED_PAD src0_sel:DWORD src1_sel:BYTE_0
	v_bfe_u32 v20, v37, 8, 8
	v_lshl_or_b32 v16, v11, 4, 0x1000
	v_bfe_u32 v21, v38, 8, 8
	v_lshlrev_b32_sdwa v22, v2, v37 dst_sel:DWORD dst_unused:UNUSED_PAD src0_sel:DWORD src1_sel:BYTE_0
	s_clause 0x1
	global_load_dwordx4 v[11:14], v12, s[12:13]
	global_load_dwordx4 v[16:19], v16, s[12:13]
	v_lshl_or_b32 v24, v20, 4, 0x1000
	v_lshlrev_b32_sdwa v2, v2, v38 dst_sel:DWORD dst_unused:UNUSED_PAD src0_sel:DWORD src1_sel:BYTE_0
	v_lshl_or_b32 v32, v21, 4, 0x1000
	s_clause 0x3
	global_load_dwordx4 v[20:23], v22, s[12:13]
	global_load_dwordx4 v[24:27], v24, s[12:13]
	;; [unrolled: 1-line block ×4, first 2 shown]
	v_bfe_u32 v2, v36, 16, 8
	v_bfe_u32 v36, v37, 16, 8
	;; [unrolled: 1-line block ×3, first 2 shown]
	v_lshl_or_b32 v2, v2, 4, 0x2000
	v_lshl_or_b32 v40, v36, 4, 0x2000
	v_lshl_or_b32 v44, v37, 4, 0x2000
	s_clause 0x2
	global_load_dwordx4 v[36:39], v2, s[12:13]
	global_load_dwordx4 v[40:43], v40, s[12:13]
	;; [unrolled: 1-line block ×3, first 2 shown]
	ds_read_b128 v[48:51], v1 offset:3888
	ds_read_b128 v[52:55], v1 offset:7776
	s_mul_i32 s13, s15, s24
	s_mul_i32 s12, s14, s24
	s_waitcnt vmcnt(10) lgkmcnt(1)
	v_mul_f64 v[56:57], v[48:49], v[5:6]
	v_mul_f64 v[5:6], v[50:51], v[5:6]
	v_fma_f64 v[50:51], v[50:51], v[3:4], -v[56:57]
	v_fma_f64 v[5:6], v[48:49], v[3:4], v[5:6]
	s_waitcnt vmcnt(9) lgkmcnt(0)
	v_mul_f64 v[2:3], v[52:53], v[9:10]
	v_mul_f64 v[9:10], v[54:55], v[9:10]
	s_waitcnt vmcnt(7)
	v_mul_f64 v[48:49], v[13:14], v[18:19]
	v_mul_f64 v[18:19], v[11:12], v[18:19]
	v_mov_b32_e32 v56, 0x10e
	v_fma_f64 v[54:55], v[54:55], v[7:8], -v[2:3]
	v_fma_f64 v[7:8], v[52:53], v[7:8], v[9:10]
	s_waitcnt vmcnt(5)
	v_mul_f64 v[9:10], v[22:23], v[26:27]
	s_waitcnt vmcnt(3)
	v_mul_f64 v[52:53], v[30:31], v[34:35]
	v_fma_f64 v[11:12], v[11:12], v[16:17], -v[48:49]
	v_fma_f64 v[13:14], v[13:14], v[16:17], v[18:19]
	v_mul_f64 v[16:17], v[28:29], v[34:35]
	v_mul_f64 v[26:27], v[20:21], v[26:27]
	ds_read_b128 v[1:4], v1
	v_mul_u32_u24_sdwa v34, v0, v56 dst_sel:DWORD dst_unused:UNUSED_PAD src0_sel:WORD_0 src1_sel:DWORD
	v_lshrrev_b32_e32 v34, 16, v34
	v_mul_lo_u16 v34, 0xf3, v34
	v_fma_f64 v[9:10], v[20:21], v[24:25], -v[9:10]
	v_fma_f64 v[18:19], v[28:29], v[32:33], -v[52:53]
	v_add_f64 v[20:21], v[50:51], v[54:55]
	v_add_f64 v[28:29], v[5:6], v[7:8]
	v_fma_f64 v[16:17], v[30:31], v[32:33], v[16:17]
	v_fma_f64 v[22:23], v[22:23], v[24:25], v[26:27]
	v_add_f64 v[24:25], v[5:6], -v[7:8]
	s_waitcnt lgkmcnt(0)
	v_add_f64 v[30:31], v[3:4], v[50:51]
	v_add_f64 v[5:6], v[1:2], v[5:6]
	s_waitcnt vmcnt(2)
	v_mul_f64 v[32:33], v[11:12], v[38:39]
	v_sub_nc_u16 v52, v0, v34
	v_add_f64 v[26:27], v[50:51], -v[54:55]
	v_mul_f64 v[38:39], v[13:14], v[38:39]
	v_sub_nc_u32_sdwa v0, v0, v52 dst_sel:DWORD dst_unused:UNUSED_PAD src0_sel:DWORD src1_sel:WORD_0
	v_add_nc_u32_e32 v50, v0, v58
	s_waitcnt vmcnt(1)
	v_mul_f64 v[34:35], v[9:10], v[42:43]
	s_waitcnt vmcnt(0)
	v_mul_f64 v[48:49], v[18:19], v[46:47]
	v_fma_f64 v[3:4], v[20:21], -0.5, v[3:4]
	v_fma_f64 v[1:2], v[28:29], -0.5, v[1:2]
	v_mul_f64 v[46:47], v[16:17], v[46:47]
	v_mul_f64 v[42:43], v[22:23], v[42:43]
	v_mad_u64_u32 v[20:21], null, s2, v15, 0
	v_add_f64 v[30:31], v[30:31], v[54:55]
	v_add_f64 v[5:6], v[5:6], v[7:8]
	v_fma_f64 v[7:8], v[36:37], v[13:14], v[32:33]
	v_mad_u64_u32 v[28:29], null, s0, v50, 0
	v_add_nc_u32_e32 v51, 0x51, v50
	v_mov_b32_e32 v0, v21
	v_fma_f64 v[11:12], v[36:37], v[11:12], -v[38:39]
	v_add_nc_u32_e32 v52, 0xa2, v50
	s_mul_hi_u32 s2, s14, s24
	s_add_i32 s13, s2, s13
	s_lshl_b64 s[12:13], s[12:13], 4
	v_fma_f64 v[13:14], v[40:41], v[22:23], v[34:35]
	v_fma_f64 v[16:17], v[44:45], v[16:17], v[48:49]
	;; [unrolled: 1-line block ×6, first 2 shown]
	v_mad_u64_u32 v[0:1], null, s3, v15, v[0:1]
	v_mov_b32_e32 v1, v29
	v_fma_f64 v[18:19], v[44:45], v[18:19], -v[46:47]
	v_fma_f64 v[9:10], v[40:41], v[9:10], -v[42:43]
	v_mad_u64_u32 v[34:35], null, s0, v51, 0
	v_mad_u64_u32 v[1:2], null, s1, v50, v[1:2]
	v_mul_f64 v[2:3], v[5:6], v[7:8]
	v_mul_f64 v[7:8], v[30:31], v[7:8]
	v_mad_u64_u32 v[48:49], null, s0, v52, 0
	v_mov_b32_e32 v4, v35
	v_mov_b32_e32 v21, v0
	;; [unrolled: 1-line block ×3, first 2 shown]
	s_add_u32 s6, s10, s12
	s_addc_u32 s7, s11, s13
	v_mad_u64_u32 v[40:41], null, s1, v51, v[4:5]
	v_mul_f64 v[36:37], v[22:23], v[13:14]
	v_mul_f64 v[13:14], v[32:33], v[13:14]
	;; [unrolled: 1-line block ×4, first 2 shown]
	v_mov_b32_e32 v17, v49
	v_lshlrev_b64 v[20:21], 4, v[20:21]
	s_lshl_b64 s[2:3], s[4:5], 4
	v_mov_b32_e32 v35, v40
	s_add_u32 s0, s6, s2
	v_mad_u64_u32 v[41:42], null, s1, v52, v[17:18]
	v_fma_f64 v[2:3], v[30:31], v[11:12], -v[2:3]
	v_fma_f64 v[0:1], v[5:6], v[11:12], v[7:8]
	v_lshlrev_b64 v[28:29], 4, v[28:29]
	s_addc_u32 s1, s7, s3
	v_mov_b32_e32 v49, v41
	v_fma_f64 v[6:7], v[32:33], v[9:10], -v[36:37]
	v_fma_f64 v[4:5], v[22:23], v[9:10], v[13:14]
	v_fma_f64 v[10:11], v[24:25], v[18:19], -v[38:39]
	v_fma_f64 v[8:9], v[26:27], v[18:19], v[15:16]
	v_add_co_u32 v18, vcc_lo, s0, v20
	v_add_co_ci_u32_e32 v19, vcc_lo, s1, v21, vcc_lo
	v_lshlrev_b64 v[12:13], 4, v[34:35]
	v_lshlrev_b64 v[14:15], 4, v[48:49]
	v_add_co_u32 v16, vcc_lo, v18, v28
	v_add_co_ci_u32_e32 v17, vcc_lo, v19, v29, vcc_lo
	v_add_co_u32 v12, vcc_lo, v18, v12
	v_add_co_ci_u32_e32 v13, vcc_lo, v19, v13, vcc_lo
	;; [unrolled: 2-line block ×3, first 2 shown]
	global_store_dwordx4 v[16:17], v[0:3], off
	global_store_dwordx4 v[12:13], v[8:11], off
	;; [unrolled: 1-line block ×3, first 2 shown]
.LBB0_16:
	s_endpgm
	.section	.rodata,"a",@progbits
	.p2align	6, 0x0
	.amdhsa_kernel fft_rtc_back_len243_factors_3_3_3_3_3_wgs_243_tpt_81_dp_op_CI_CI_sbcc_twdbase8_3step_dirReg
		.amdhsa_group_segment_fixed_size 0
		.amdhsa_private_segment_fixed_size 0
		.amdhsa_kernarg_size 112
		.amdhsa_user_sgpr_count 6
		.amdhsa_user_sgpr_private_segment_buffer 1
		.amdhsa_user_sgpr_dispatch_ptr 0
		.amdhsa_user_sgpr_queue_ptr 0
		.amdhsa_user_sgpr_kernarg_segment_ptr 1
		.amdhsa_user_sgpr_dispatch_id 0
		.amdhsa_user_sgpr_flat_scratch_init 0
		.amdhsa_user_sgpr_private_segment_size 0
		.amdhsa_wavefront_size32 1
		.amdhsa_uses_dynamic_stack 0
		.amdhsa_system_sgpr_private_segment_wavefront_offset 0
		.amdhsa_system_sgpr_workgroup_id_x 1
		.amdhsa_system_sgpr_workgroup_id_y 0
		.amdhsa_system_sgpr_workgroup_id_z 0
		.amdhsa_system_sgpr_workgroup_info 0
		.amdhsa_system_vgpr_workitem_id 0
		.amdhsa_next_free_vgpr 59
		.amdhsa_next_free_sgpr 59
		.amdhsa_reserve_vcc 1
		.amdhsa_reserve_flat_scratch 0
		.amdhsa_float_round_mode_32 0
		.amdhsa_float_round_mode_16_64 0
		.amdhsa_float_denorm_mode_32 3
		.amdhsa_float_denorm_mode_16_64 3
		.amdhsa_dx10_clamp 1
		.amdhsa_ieee_mode 1
		.amdhsa_fp16_overflow 0
		.amdhsa_workgroup_processor_mode 1
		.amdhsa_memory_ordered 1
		.amdhsa_forward_progress 0
		.amdhsa_shared_vgpr_count 0
		.amdhsa_exception_fp_ieee_invalid_op 0
		.amdhsa_exception_fp_denorm_src 0
		.amdhsa_exception_fp_ieee_div_zero 0
		.amdhsa_exception_fp_ieee_overflow 0
		.amdhsa_exception_fp_ieee_underflow 0
		.amdhsa_exception_fp_ieee_inexact 0
		.amdhsa_exception_int_div_zero 0
	.end_amdhsa_kernel
	.text
.Lfunc_end0:
	.size	fft_rtc_back_len243_factors_3_3_3_3_3_wgs_243_tpt_81_dp_op_CI_CI_sbcc_twdbase8_3step_dirReg, .Lfunc_end0-fft_rtc_back_len243_factors_3_3_3_3_3_wgs_243_tpt_81_dp_op_CI_CI_sbcc_twdbase8_3step_dirReg
                                        ; -- End function
	.section	.AMDGPU.csdata,"",@progbits
; Kernel info:
; codeLenInByte = 4472
; NumSgprs: 61
; NumVgprs: 59
; ScratchSize: 0
; MemoryBound: 0
; FloatMode: 240
; IeeeMode: 1
; LDSByteSize: 0 bytes/workgroup (compile time only)
; SGPRBlocks: 7
; VGPRBlocks: 7
; NumSGPRsForWavesPerEU: 61
; NumVGPRsForWavesPerEU: 59
; Occupancy: 16
; WaveLimiterHint : 1
; COMPUTE_PGM_RSRC2:SCRATCH_EN: 0
; COMPUTE_PGM_RSRC2:USER_SGPR: 6
; COMPUTE_PGM_RSRC2:TRAP_HANDLER: 0
; COMPUTE_PGM_RSRC2:TGID_X_EN: 1
; COMPUTE_PGM_RSRC2:TGID_Y_EN: 0
; COMPUTE_PGM_RSRC2:TGID_Z_EN: 0
; COMPUTE_PGM_RSRC2:TIDIG_COMP_CNT: 0
	.text
	.p2alignl 6, 3214868480
	.fill 48, 4, 3214868480
	.type	__hip_cuid_c5470735de0f2bf0,@object ; @__hip_cuid_c5470735de0f2bf0
	.section	.bss,"aw",@nobits
	.globl	__hip_cuid_c5470735de0f2bf0
__hip_cuid_c5470735de0f2bf0:
	.byte	0                               ; 0x0
	.size	__hip_cuid_c5470735de0f2bf0, 1

	.ident	"AMD clang version 19.0.0git (https://github.com/RadeonOpenCompute/llvm-project roc-6.4.0 25133 c7fe45cf4b819c5991fe208aaa96edf142730f1d)"
	.section	".note.GNU-stack","",@progbits
	.addrsig
	.addrsig_sym __hip_cuid_c5470735de0f2bf0
	.amdgpu_metadata
---
amdhsa.kernels:
  - .args:
      - .actual_access:  read_only
        .address_space:  global
        .offset:         0
        .size:           8
        .value_kind:     global_buffer
      - .address_space:  global
        .offset:         8
        .size:           8
        .value_kind:     global_buffer
      - .offset:         16
        .size:           8
        .value_kind:     by_value
      - .actual_access:  read_only
        .address_space:  global
        .offset:         24
        .size:           8
        .value_kind:     global_buffer
      - .actual_access:  read_only
        .address_space:  global
        .offset:         32
        .size:           8
        .value_kind:     global_buffer
      - .actual_access:  read_only
        .address_space:  global
        .offset:         40
        .size:           8
        .value_kind:     global_buffer
      - .offset:         48
        .size:           8
        .value_kind:     by_value
      - .actual_access:  read_only
        .address_space:  global
        .offset:         56
        .size:           8
        .value_kind:     global_buffer
      - .actual_access:  read_only
        .address_space:  global
        .offset:         64
        .size:           8
        .value_kind:     global_buffer
      - .offset:         72
        .size:           4
        .value_kind:     by_value
      - .actual_access:  read_only
        .address_space:  global
        .offset:         80
        .size:           8
        .value_kind:     global_buffer
      - .actual_access:  read_only
        .address_space:  global
        .offset:         88
        .size:           8
        .value_kind:     global_buffer
      - .actual_access:  read_only
        .address_space:  global
        .offset:         96
        .size:           8
        .value_kind:     global_buffer
      - .actual_access:  write_only
        .address_space:  global
        .offset:         104
        .size:           8
        .value_kind:     global_buffer
    .group_segment_fixed_size: 0
    .kernarg_segment_align: 8
    .kernarg_segment_size: 112
    .language:       OpenCL C
    .language_version:
      - 2
      - 0
    .max_flat_workgroup_size: 243
    .name:           fft_rtc_back_len243_factors_3_3_3_3_3_wgs_243_tpt_81_dp_op_CI_CI_sbcc_twdbase8_3step_dirReg
    .private_segment_fixed_size: 0
    .sgpr_count:     61
    .sgpr_spill_count: 0
    .symbol:         fft_rtc_back_len243_factors_3_3_3_3_3_wgs_243_tpt_81_dp_op_CI_CI_sbcc_twdbase8_3step_dirReg.kd
    .uniform_work_group_size: 1
    .uses_dynamic_stack: false
    .vgpr_count:     59
    .vgpr_spill_count: 0
    .wavefront_size: 32
    .workgroup_processor_mode: 1
amdhsa.target:   amdgcn-amd-amdhsa--gfx1030
amdhsa.version:
  - 1
  - 2
...

	.end_amdgpu_metadata
